;; amdgpu-corpus repo=zjin-lcf/HeCBench kind=compiled arch=gfx950 opt=O3
	.amdgcn_target "amdgcn-amd-amdhsa--gfx950"
	.amdhsa_code_object_version 6
	.text
	.protected	_Z19bit_rev_permutationPlPKlj ; -- Begin function _Z19bit_rev_permutationPlPKlj
	.globl	_Z19bit_rev_permutationPlPKlj
	.p2align	8
	.type	_Z19bit_rev_permutationPlPKlj,@function
_Z19bit_rev_permutationPlPKlj:          ; @_Z19bit_rev_permutationPlPKlj
; %bb.0:
	s_load_dword s3, s[0:1], 0x18
	s_load_dword s10, s[0:1], 0x24
	;; [unrolled: 1-line block ×3, first 2 shown]
	s_load_dwordx4 s[4:7], s[0:1], 0x0
	s_waitcnt lgkmcnt(0)
	s_cmp_eq_u32 s3, 1
	s_cselect_b64 s[8:9], -1, 0
	s_and_b32 s0, s10, 0xffff
	s_lshl_b32 s1, 1, s12
	s_cmp_eq_u32 s1, s0
	s_cselect_b64 s[10:11], -1, 0
	s_and_b64 s[8:9], s[8:9], s[10:11]
	s_andn2_b64 vcc, exec, s[8:9]
	s_cbranch_vccz .LBB0_6
; %bb.1:
	s_mul_i32 s2, s2, s0
	v_add_u32_e32 v2, s2, v0
	v_bfrev_b32_e32 v1, v2
	s_sub_i32 s0, 32, s12
	v_lshrrev_b32_e32 v6, s0, v1
	s_cmp_lg_u64 s[4:5], s[6:7]
	s_cselect_b64 s[0:1], -1, 0
	v_cmp_eq_u32_e32 vcc, v2, v6
	s_and_b64 s[10:11], s[0:1], vcc
	v_cmp_lt_u32_e32 vcc, v2, v6
	s_or_b64 s[8:9], vcc, s[10:11]
	s_mov_b64 s[0:1], 0
	s_mov_b64 s[2:3], 0
                                        ; implicit-def: $vgpr4_vgpr5
	s_and_saveexec_b64 s[14:15], s[8:9]
	s_xor_b64 s[8:9], exec, s[14:15]
	s_cbranch_execz .LBB0_5
; %bb.2:
	v_mov_b32_e32 v3, 0
	v_lshl_add_u64 v[4:5], v[2:3], 3, s[6:7]
	global_load_dwordx2 v[4:5], v[4:5], off
	s_xor_b64 s[10:11], s[10:11], -1
	s_and_saveexec_b64 s[2:3], s[10:11]
	s_cbranch_execz .LBB0_4
; %bb.3:
	v_mov_b32_e32 v7, v3
	v_lshl_add_u64 v[8:9], v[6:7], 3, s[6:7]
	global_load_dwordx2 v[8:9], v[8:9], off
	v_lshl_add_u64 v[2:3], v[2:3], 3, s[4:5]
	s_waitcnt vmcnt(0)
	global_store_dwordx2 v[2:3], v[8:9], off
	v_mov_b64_e32 v[2:3], v[6:7]
.LBB0_4:
	s_or_b64 exec, exec, s[2:3]
	s_mov_b64 s[2:3], exec
.LBB0_5:
	s_or_b64 exec, exec, s[8:9]
	s_and_b64 vcc, exec, s[0:1]
	s_cbranch_vccnz .LBB0_7
	s_branch .LBB0_10
.LBB0_6:
	s_mov_b64 s[2:3], 0
                                        ; implicit-def: $vgpr4_vgpr5
                                        ; implicit-def: $vgpr2_vgpr3
	s_cbranch_execz .LBB0_10
.LBB0_7:
	v_lshlrev_b32_e32 v1, 3, v0
	global_load_dwordx2 v[4:5], v1, s[6:7]
	s_cmp_lg_u64 s[4:5], s[6:7]
	s_cbranch_scc1 .LBB0_9
; %bb.8:
	s_barrier
.LBB0_9:
	v_bfrev_b32_e32 v0, v0
	s_sub_i32 s0, 32, s12
	v_lshrrev_b32_e32 v2, s0, v0
	v_mov_b32_e32 v3, 0
	s_mov_b64 s[2:3], -1
.LBB0_10:
	s_and_saveexec_b64 s[0:1], s[2:3]
	s_cbranch_execnz .LBB0_12
; %bb.11:
	s_endpgm
.LBB0_12:
	v_lshl_add_u64 v[0:1], v[2:3], 3, s[4:5]
	s_waitcnt vmcnt(0)
	global_store_dwordx2 v[0:1], v[4:5], off
	s_endpgm
	.section	.rodata,"a",@progbits
	.p2align	6, 0x0
	.amdhsa_kernel _Z19bit_rev_permutationPlPKlj
		.amdhsa_group_segment_fixed_size 0
		.amdhsa_private_segment_fixed_size 0
		.amdhsa_kernarg_size 280
		.amdhsa_user_sgpr_count 2
		.amdhsa_user_sgpr_dispatch_ptr 0
		.amdhsa_user_sgpr_queue_ptr 0
		.amdhsa_user_sgpr_kernarg_segment_ptr 1
		.amdhsa_user_sgpr_dispatch_id 0
		.amdhsa_user_sgpr_kernarg_preload_length 0
		.amdhsa_user_sgpr_kernarg_preload_offset 0
		.amdhsa_user_sgpr_private_segment_size 0
		.amdhsa_uses_dynamic_stack 0
		.amdhsa_enable_private_segment 0
		.amdhsa_system_sgpr_workgroup_id_x 1
		.amdhsa_system_sgpr_workgroup_id_y 0
		.amdhsa_system_sgpr_workgroup_id_z 0
		.amdhsa_system_sgpr_workgroup_info 0
		.amdhsa_system_vgpr_workitem_id 0
		.amdhsa_next_free_vgpr 10
		.amdhsa_next_free_sgpr 16
		.amdhsa_accum_offset 12
		.amdhsa_reserve_vcc 1
		.amdhsa_float_round_mode_32 0
		.amdhsa_float_round_mode_16_64 0
		.amdhsa_float_denorm_mode_32 3
		.amdhsa_float_denorm_mode_16_64 3
		.amdhsa_dx10_clamp 1
		.amdhsa_ieee_mode 1
		.amdhsa_fp16_overflow 0
		.amdhsa_tg_split 0
		.amdhsa_exception_fp_ieee_invalid_op 0
		.amdhsa_exception_fp_denorm_src 0
		.amdhsa_exception_fp_ieee_div_zero 0
		.amdhsa_exception_fp_ieee_overflow 0
		.amdhsa_exception_fp_ieee_underflow 0
		.amdhsa_exception_fp_ieee_inexact 0
		.amdhsa_exception_int_div_zero 0
	.end_amdhsa_kernel
	.text
.Lfunc_end0:
	.size	_Z19bit_rev_permutationPlPKlj, .Lfunc_end0-_Z19bit_rev_permutationPlPKlj
                                        ; -- End function
	.set _Z19bit_rev_permutationPlPKlj.num_vgpr, 10
	.set _Z19bit_rev_permutationPlPKlj.num_agpr, 0
	.set _Z19bit_rev_permutationPlPKlj.numbered_sgpr, 16
	.set _Z19bit_rev_permutationPlPKlj.num_named_barrier, 0
	.set _Z19bit_rev_permutationPlPKlj.private_seg_size, 0
	.set _Z19bit_rev_permutationPlPKlj.uses_vcc, 1
	.set _Z19bit_rev_permutationPlPKlj.uses_flat_scratch, 0
	.set _Z19bit_rev_permutationPlPKlj.has_dyn_sized_stack, 0
	.set _Z19bit_rev_permutationPlPKlj.has_recursion, 0
	.set _Z19bit_rev_permutationPlPKlj.has_indirect_call, 0
	.section	.AMDGPU.csdata,"",@progbits
; Kernel info:
; codeLenInByte = 328
; TotalNumSgprs: 22
; NumVgprs: 10
; NumAgprs: 0
; TotalNumVgprs: 10
; ScratchSize: 0
; MemoryBound: 0
; FloatMode: 240
; IeeeMode: 1
; LDSByteSize: 0 bytes/workgroup (compile time only)
; SGPRBlocks: 2
; VGPRBlocks: 1
; NumSGPRsForWavesPerEU: 22
; NumVGPRsForWavesPerEU: 10
; AccumOffset: 12
; Occupancy: 8
; WaveLimiterHint : 0
; COMPUTE_PGM_RSRC2:SCRATCH_EN: 0
; COMPUTE_PGM_RSRC2:USER_SGPR: 2
; COMPUTE_PGM_RSRC2:TRAP_HANDLER: 0
; COMPUTE_PGM_RSRC2:TGID_X_EN: 1
; COMPUTE_PGM_RSRC2:TGID_Y_EN: 0
; COMPUTE_PGM_RSRC2:TGID_Z_EN: 0
; COMPUTE_PGM_RSRC2:TIDIG_COMP_CNT: 0
; COMPUTE_PGM_RSRC3_GFX90A:ACCUM_OFFSET: 2
; COMPUTE_PGM_RSRC3_GFX90A:TG_SPLIT: 0
	.text
	.protected	_Z21bit_rev_permutation_zPlPKlj ; -- Begin function _Z21bit_rev_permutation_zPlPKlj
	.globl	_Z21bit_rev_permutation_zPlPKlj
	.p2align	8
	.type	_Z21bit_rev_permutation_zPlPKlj,@function
_Z21bit_rev_permutation_zPlPKlj:        ; @_Z21bit_rev_permutation_zPlPKlj
; %bb.0:
	s_load_dwordx4 s[4:7], s[0:1], 0x0
	s_load_dword s3, s[0:1], 0x10
	s_load_dword s8, s[0:1], 0x18
	;; [unrolled: 1-line block ×3, first 2 shown]
	v_and_b32_e32 v13, 31, v0
	v_bfrev_b32_e32 v1, v13
	v_lshlrev_b32_e32 v3, 8, v0
	v_lshrrev_b32_e32 v2, 27, v1
	v_and_b32_e32 v3, 0x3e000, v3
	v_lshrrev_b32_e32 v1, 24, v1
	s_waitcnt lgkmcnt(0)
	s_add_i32 s10, s3, -5
	s_and_b32 s0, s9, 0xffff
	v_add3_u32 v1, 0, v3, v1
	v_mul_u32_u24_e32 v2, 0xf8, v2
	s_add_i32 s46, s2, s8
	s_mul_i32 s11, s2, s0
	s_sub_i32 s12, 42, s3
	s_mul_i32 s13, s8, s0
	s_lshl_b32 s14, 1, s10
	s_lshl_b32 s15, 2, s10
	;; [unrolled: 1-line block ×31, first 2 shown]
	s_mul_i32 s46, s46, s0
	s_mov_b64 s[0:1], 0
	s_movk_i32 s47, 0xffe0
	v_mov_b32_e32 v3, 0
	v_add_u32_e32 v12, v1, v2
	s_branch .LBB1_2
.LBB1_1:                                ;   in Loop: Header=BB1_2 Depth=1
	s_or_b64 exec, exec, s[2:3]
	v_add_u32_e32 v2, s46, v0
	v_lshrrev_b32_e32 v2, s10, v2
	v_cmp_ne_u32_e32 vcc, 0, v2
	s_or_b64 s[0:1], vcc, s[0:1]
	v_add_u32_e32 v0, s13, v0
	s_andn2_b64 exec, exec, s[0:1]
	s_cbranch_execz .LBB1_69
.LBB1_2:                                ; =>This Inner Loop Header: Depth=1
	v_add_u32_e32 v4, s11, v0
	v_lshrrev_b32_e32 v2, 5, v4
	v_bfrev_b32_e32 v5, v2
	v_lshrrev_b32_e32 v6, s12, v5
	v_cmp_le_u32_e32 vcc, v2, v6
	s_and_saveexec_b64 s[2:3], vcc
	s_cbranch_execz .LBB1_1
; %bb.3:                                ;   in Loop: Header=BB1_2 Depth=1
	v_and_or_b32 v4, v4, s47, v13
	v_mov_b32_e32 v5, v3
	v_lshl_add_u64 v[8:9], v[4:5], 3, s[6:7]
	global_load_dwordx2 v[8:9], v[8:9], off
	v_lshl_or_b32 v98, v6, 5, v13
	v_cmp_ne_u32_e32 vcc, v2, v6
	s_waitcnt vmcnt(0)
	v_mov_b64_e32 v[6:7], v[8:9]
	scratch_store_dwordx2 off, v[6:7], off  ; 8-byte Folded Spill
	ds_write_b64 v1, v[8:9]
	s_and_saveexec_b64 s[8:9], vcc
	s_cbranch_execz .LBB1_5
; %bb.4:                                ;   in Loop: Header=BB1_2 Depth=1
	v_mov_b32_e32 v99, v3
	v_lshl_add_u64 v[6:7], v[98:99], 3, s[6:7]
	global_load_dwordx2 v[6:7], v[6:7], off
	s_waitcnt vmcnt(0)
	scratch_store_dwordx2 off, v[6:7], off  ; 8-byte Folded Spill
.LBB1_5:                                ;   in Loop: Header=BB1_2 Depth=1
	s_or_b64 exec, exec, s[8:9]
	v_add_u32_e32 v2, s14, v4
	v_lshl_add_u64 v[6:7], v[2:3], 3, s[6:7]
	global_load_dwordx2 v[8:9], v[6:7], off
	v_add_u32_e32 v106, s14, v98
	s_waitcnt vmcnt(0)
	v_mov_b64_e32 v[6:7], v[8:9]
	scratch_store_dwordx2 off, v[6:7], off offset:8 ; 8-byte Folded Spill
	ds_write_b64 v1, v[8:9] offset:256
	s_and_saveexec_b64 s[8:9], vcc
	s_cbranch_execz .LBB1_7
; %bb.6:                                ;   in Loop: Header=BB1_2 Depth=1
	v_mov_b32_e32 v107, v3
	v_lshl_add_u64 v[6:7], v[106:107], 3, s[6:7]
	global_load_dwordx2 v[6:7], v[6:7], off
	s_waitcnt vmcnt(0)
	scratch_store_dwordx2 off, v[6:7], off offset:8 ; 8-byte Folded Spill
.LBB1_7:                                ;   in Loop: Header=BB1_2 Depth=1
	s_or_b64 exec, exec, s[8:9]
	v_add_u32_e32 v6, s15, v4
	v_mov_b32_e32 v7, v3
	scratch_store_dwordx2 off, v[6:7], off offset:192 ; 8-byte Folded Spill
	v_lshl_add_u64 v[6:7], v[6:7], 3, s[6:7]
	global_load_dwordx2 v[8:9], v[6:7], off
	v_add_u32_e32 v104, s15, v98
	s_waitcnt vmcnt(0)
	v_mov_b64_e32 v[6:7], v[8:9]
	scratch_store_dwordx2 off, v[6:7], off offset:16 ; 8-byte Folded Spill
	ds_write_b64 v1, v[8:9] offset:512
	s_and_saveexec_b64 s[8:9], vcc
	s_cbranch_execz .LBB1_9
; %bb.8:                                ;   in Loop: Header=BB1_2 Depth=1
	v_mov_b32_e32 v105, v3
	v_lshl_add_u64 v[6:7], v[104:105], 3, s[6:7]
	global_load_dwordx2 v[6:7], v[6:7], off
	s_waitcnt vmcnt(0)
	scratch_store_dwordx2 off, v[6:7], off offset:16 ; 8-byte Folded Spill
.LBB1_9:                                ;   in Loop: Header=BB1_2 Depth=1
	s_or_b64 exec, exec, s[8:9]
	v_add_u32_e32 v6, s16, v4
	v_mov_b32_e32 v7, v3
	scratch_store_dwordx2 off, v[6:7], off offset:200 ; 8-byte Folded Spill
	v_lshl_add_u64 v[6:7], v[6:7], 3, s[6:7]
	global_load_dwordx2 v[8:9], v[6:7], off
	v_add_u32_e32 v110, s16, v98
	s_waitcnt vmcnt(0)
	v_mov_b64_e32 v[6:7], v[8:9]
	scratch_store_dwordx2 off, v[6:7], off offset:24 ; 8-byte Folded Spill
	ds_write_b64 v1, v[8:9] offset:768
	s_and_saveexec_b64 s[8:9], vcc
	s_cbranch_execz .LBB1_11
; %bb.10:                               ;   in Loop: Header=BB1_2 Depth=1
	v_mov_b32_e32 v111, v3
	v_lshl_add_u64 v[6:7], v[110:111], 3, s[6:7]
	global_load_dwordx2 v[6:7], v[6:7], off
	s_waitcnt vmcnt(0)
	scratch_store_dwordx2 off, v[6:7], off offset:24 ; 8-byte Folded Spill
.LBB1_11:                               ;   in Loop: Header=BB1_2 Depth=1
	s_or_b64 exec, exec, s[8:9]
	v_add_u32_e32 v6, s17, v4
	v_mov_b32_e32 v7, v3
	scratch_store_dwordx2 off, v[6:7], off offset:208 ; 8-byte Folded Spill
	v_lshl_add_u64 v[6:7], v[6:7], 3, s[6:7]
	global_load_dwordx2 v[8:9], v[6:7], off
	v_add_u32_e32 v114, s17, v98
	s_waitcnt vmcnt(0)
	v_mov_b64_e32 v[6:7], v[8:9]
	scratch_store_dwordx2 off, v[6:7], off offset:32 ; 8-byte Folded Spill
	ds_write_b64 v1, v[8:9] offset:1024
	s_and_saveexec_b64 s[8:9], vcc
	s_cbranch_execz .LBB1_13
; %bb.12:                               ;   in Loop: Header=BB1_2 Depth=1
	v_mov_b32_e32 v115, v3
	v_lshl_add_u64 v[6:7], v[114:115], 3, s[6:7]
	global_load_dwordx2 v[6:7], v[6:7], off
	s_waitcnt vmcnt(0)
	scratch_store_dwordx2 off, v[6:7], off offset:32 ; 8-byte Folded Spill
.LBB1_13:                               ;   in Loop: Header=BB1_2 Depth=1
	;; [unrolled: 20-line block ×5, first 2 shown]
	s_or_b64 exec, exec, s[8:9]
	v_add_u32_e32 v6, s21, v4
	v_mov_b32_e32 v7, v3
	scratch_store_dwordx2 off, v[6:7], off offset:240 ; 8-byte Folded Spill
	v_lshl_add_u64 v[6:7], v[6:7], 3, s[6:7]
	global_load_dwordx2 v[8:9], v[6:7], off
	s_waitcnt vmcnt(0)
	v_mov_b64_e32 v[6:7], v[8:9]
	scratch_store_dwordx2 off, v[6:7], off offset:64 ; 8-byte Folded Spill
	v_add_u32_e32 v6, s21, v98
	ds_write_b64 v1, v[8:9] offset:2048
	s_and_saveexec_b64 s[8:9], vcc
	s_cbranch_execz .LBB1_21
; %bb.20:                               ;   in Loop: Header=BB1_2 Depth=1
	v_mov_b32_e32 v7, v3
	v_lshl_add_u64 v[8:9], v[6:7], 3, s[6:7]
	global_load_dwordx2 v[8:9], v[8:9], off
	s_waitcnt vmcnt(0)
	scratch_store_dwordx2 off, v[8:9], off offset:64 ; 8-byte Folded Spill
.LBB1_21:                               ;   in Loop: Header=BB1_2 Depth=1
	s_or_b64 exec, exec, s[8:9]
	v_add_u32_e32 v8, s22, v4
	v_mov_b32_e32 v9, v3
	scratch_store_dwordx2 off, v[8:9], off offset:248 ; 8-byte Folded Spill
	v_lshl_add_u64 v[8:9], v[8:9], 3, s[6:7]
	global_load_dwordx2 v[10:11], v[8:9], off
	v_add_u32_e32 v22, s22, v98
	s_waitcnt vmcnt(0)
	v_mov_b64_e32 v[8:9], v[10:11]
	scratch_store_dwordx2 off, v[8:9], off offset:72 ; 8-byte Folded Spill
	ds_write_b64 v1, v[10:11] offset:2304
	s_and_saveexec_b64 s[8:9], vcc
	s_cbranch_execz .LBB1_23
; %bb.22:                               ;   in Loop: Header=BB1_2 Depth=1
	v_mov_b32_e32 v23, v3
	v_lshl_add_u64 v[8:9], v[22:23], 3, s[6:7]
	global_load_dwordx2 v[8:9], v[8:9], off
	s_waitcnt vmcnt(0)
	scratch_store_dwordx2 off, v[8:9], off offset:72 ; 8-byte Folded Spill
.LBB1_23:                               ;   in Loop: Header=BB1_2 Depth=1
	s_or_b64 exec, exec, s[8:9]
	v_add_u32_e32 v8, s23, v4
	v_mov_b32_e32 v9, v3
	scratch_store_dwordx2 off, v[8:9], off offset:256 ; 8-byte Folded Spill
	v_lshl_add_u64 v[8:9], v[8:9], 3, s[6:7]
	global_load_dwordx2 v[10:11], v[8:9], off
	v_add_u32_e32 v16, s23, v98
	s_waitcnt vmcnt(0)
	v_mov_b64_e32 v[8:9], v[10:11]
	scratch_store_dwordx2 off, v[8:9], off offset:80 ; 8-byte Folded Spill
	;; [unrolled: 20-line block ×5, first 2 shown]
	ds_write_b64 v1, v[10:11] offset:3328
	s_and_saveexec_b64 s[8:9], vcc
	s_cbranch_execz .LBB1_31
; %bb.30:                               ;   in Loop: Header=BB1_2 Depth=1
	v_mov_b32_e32 v49, v3
	v_lshl_add_u64 v[8:9], v[48:49], 3, s[6:7]
	global_load_dwordx2 v[8:9], v[8:9], off
	s_waitcnt vmcnt(0)
	scratch_store_dwordx2 off, v[8:9], off offset:104 ; 8-byte Folded Spill
.LBB1_31:                               ;   in Loop: Header=BB1_2 Depth=1
	s_or_b64 exec, exec, s[8:9]
	v_add_u32_e32 v42, s27, v4
	v_mov_b32_e32 v43, v3
	v_lshl_add_u64 v[8:9], v[42:43], 3, s[6:7]
	global_load_dwordx2 v[10:11], v[8:9], off
	v_add_u32_e32 v40, s27, v98
	s_waitcnt vmcnt(0)
	v_mov_b64_e32 v[8:9], v[10:11]
	scratch_store_dwordx2 off, v[8:9], off offset:112 ; 8-byte Folded Spill
	ds_write_b64 v1, v[10:11] offset:3584
	s_and_saveexec_b64 s[8:9], vcc
	s_cbranch_execz .LBB1_33
; %bb.32:                               ;   in Loop: Header=BB1_2 Depth=1
	v_mov_b32_e32 v41, v3
	v_lshl_add_u64 v[8:9], v[40:41], 3, s[6:7]
	global_load_dwordx2 v[8:9], v[8:9], off
	s_waitcnt vmcnt(0)
	scratch_store_dwordx2 off, v[8:9], off offset:112 ; 8-byte Folded Spill
.LBB1_33:                               ;   in Loop: Header=BB1_2 Depth=1
	s_or_b64 exec, exec, s[8:9]
	v_add_u32_e32 v46, s28, v4
	v_mov_b32_e32 v47, v3
	v_lshl_add_u64 v[8:9], v[46:47], 3, s[6:7]
	global_load_dwordx2 v[10:11], v[8:9], off
	v_add_u32_e32 v54, s28, v98
	s_waitcnt vmcnt(0)
	v_mov_b64_e32 v[8:9], v[10:11]
	scratch_store_dwordx2 off, v[8:9], off offset:120 ; 8-byte Folded Spill
	;; [unrolled: 19-line block ×7, first 2 shown]
	ds_write_b64 v1, v[10:11] offset:5120
	s_and_saveexec_b64 s[8:9], vcc
	s_cbranch_execz .LBB1_45
; %bb.44:                               ;   in Loop: Header=BB1_2 Depth=1
	v_mov_b32_e32 v87, v3
	v_lshl_add_u64 v[8:9], v[86:87], 3, s[6:7]
	global_load_dwordx2 v[8:9], v[8:9], off
	s_waitcnt vmcnt(0)
	scratch_store_dwordx2 off, v[8:9], off offset:160 ; 8-byte Folded Spill
.LBB1_45:                               ;   in Loop: Header=BB1_2 Depth=1
	s_or_b64 exec, exec, s[8:9]
	v_add_u32_e32 v74, s35, v4
	v_mov_b32_e32 v75, v3
	v_lshl_add_u64 v[8:9], v[74:75], 3, s[6:7]
	global_load_dwordx2 v[10:11], v[8:9], off
	s_waitcnt vmcnt(0)
	v_mov_b64_e32 v[8:9], v[10:11]
	ds_write_b64 v1, v[10:11] offset:5376
	v_add_u32_e32 v10, s35, v98
	scratch_store_dwordx2 off, v[8:9], off offset:168 ; 8-byte Folded Spill
	s_and_saveexec_b64 s[8:9], vcc
	s_cbranch_execz .LBB1_47
; %bb.46:                               ;   in Loop: Header=BB1_2 Depth=1
	v_mov_b32_e32 v11, v3
	v_lshl_add_u64 v[8:9], v[10:11], 3, s[6:7]
	global_load_dwordx2 v[8:9], v[8:9], off
	s_waitcnt vmcnt(0)
	scratch_store_dwordx2 off, v[8:9], off offset:168 ; 8-byte Folded Spill
.LBB1_47:                               ;   in Loop: Header=BB1_2 Depth=1
	s_or_b64 exec, exec, s[8:9]
	v_add_u32_e32 v78, s36, v4
	v_mov_b32_e32 v79, v3
	v_lshl_add_u64 v[8:9], v[78:79], 3, s[6:7]
	global_load_dwordx2 v[14:15], v[8:9], off
	s_waitcnt vmcnt(0)
	v_mov_b64_e32 v[8:9], v[14:15]
	scratch_store_dwordx2 off, v[8:9], off offset:176 ; 8-byte Folded Spill
	v_add_u32_e32 v8, s36, v98
	ds_write_b64 v1, v[14:15] offset:5632
	s_and_saveexec_b64 s[8:9], vcc
	s_cbranch_execz .LBB1_49
; %bb.48:                               ;   in Loop: Header=BB1_2 Depth=1
	v_mov_b32_e32 v9, v3
	v_lshl_add_u64 v[14:15], v[8:9], 3, s[6:7]
	global_load_dwordx2 v[14:15], v[14:15], off
	s_waitcnt vmcnt(0)
	scratch_store_dwordx2 off, v[14:15], off offset:176 ; 8-byte Folded Spill
.LBB1_49:                               ;   in Loop: Header=BB1_2 Depth=1
	s_or_b64 exec, exec, s[8:9]
	v_add_u32_e32 v80, s37, v4
	v_mov_b32_e32 v81, v3
	v_lshl_add_u64 v[14:15], v[80:81], 3, s[6:7]
	global_load_dwordx2 v[18:19], v[14:15], off
	v_add_u32_e32 v96, s37, v98
	s_waitcnt vmcnt(0)
	v_mov_b64_e32 v[14:15], v[18:19]
	scratch_store_dwordx2 off, v[14:15], off offset:184 ; 8-byte Folded Spill
	ds_write_b64 v1, v[18:19] offset:5888
	s_and_saveexec_b64 s[8:9], vcc
	s_cbranch_execz .LBB1_51
; %bb.50:                               ;   in Loop: Header=BB1_2 Depth=1
	v_mov_b32_e32 v97, v3
	v_lshl_add_u64 v[14:15], v[96:97], 3, s[6:7]
	global_load_dwordx2 v[14:15], v[14:15], off
	s_waitcnt vmcnt(0)
	scratch_store_dwordx2 off, v[14:15], off offset:184 ; 8-byte Folded Spill
.LBB1_51:                               ;   in Loop: Header=BB1_2 Depth=1
	s_or_b64 exec, exec, s[8:9]
	v_add_u32_e32 v84, s38, v4
	v_mov_b32_e32 v85, v3
	v_lshl_add_u64 v[14:15], v[84:85], 3, s[6:7]
	global_load_dwordx2 v[26:27], v[14:15], off
	v_add_u32_e32 v18, s38, v98
	s_waitcnt vmcnt(0)
	ds_write_b64 v1, v[26:27] offset:6144
	s_and_saveexec_b64 s[8:9], vcc
	s_cbranch_execz .LBB1_53
; %bb.52:                               ;   in Loop: Header=BB1_2 Depth=1
	v_mov_b32_e32 v19, v3
	v_lshl_add_u64 v[14:15], v[18:19], 3, s[6:7]
	global_load_dwordx2 v[26:27], v[14:15], off
.LBB1_53:                               ;   in Loop: Header=BB1_2 Depth=1
	s_or_b64 exec, exec, s[8:9]
	v_add_u32_e32 v88, s39, v4
	v_mov_b32_e32 v89, v3
	v_lshl_add_u64 v[14:15], v[88:89], 3, s[6:7]
	global_load_dwordx2 v[44:45], v[14:15], off
	v_add_u32_e32 v20, s39, v98
	s_waitcnt vmcnt(0)
	ds_write_b64 v1, v[44:45] offset:6400
	s_and_saveexec_b64 s[8:9], vcc
	s_cbranch_execz .LBB1_55
; %bb.54:                               ;   in Loop: Header=BB1_2 Depth=1
	v_mov_b32_e32 v21, v3
	v_lshl_add_u64 v[14:15], v[20:21], 3, s[6:7]
	global_load_dwordx2 v[44:45], v[14:15], off
.LBB1_55:                               ;   in Loop: Header=BB1_2 Depth=1
	;; [unrolled: 15-line block ×7, first 2 shown]
	s_or_b64 exec, exec, s[8:9]
	v_add_u32_e32 v124, s45, v4
	v_mov_b32_e32 v125, v3
	v_lshl_add_u64 v[32:33], v[124:125], 3, s[6:7]
	global_load_dwordx2 v[32:33], v[32:33], off
	v_add_u32_e32 v38, s45, v98
	v_mov_b32_e32 v39, v3
	s_waitcnt vmcnt(0)
	ds_write_b64 v1, v[32:33] offset:7936
	s_and_saveexec_b64 s[8:9], vcc
	s_cbranch_execz .LBB1_67
; %bb.66:                               ;   in Loop: Header=BB1_2 Depth=1
	v_lshl_add_u64 v[32:33], v[38:39], 3, s[6:7]
	global_load_dwordx2 v[32:33], v[32:33], off
.LBB1_67:                               ;   in Loop: Header=BB1_2 Depth=1
	s_or_b64 exec, exec, s[8:9]
	ds_read2_b64 v[50:53], v12 offset1:1
	v_mov_b32_e32 v99, v3
	v_lshl_add_u64 v[98:99], v[98:99], 3, s[4:5]
	v_mov_b32_e32 v107, v3
	v_mov_b32_e32 v105, v3
	s_waitcnt lgkmcnt(0)
	global_store_dwordx2 v[98:99], v[50:51], off
	v_lshl_add_u64 v[50:51], v[106:107], 3, s[4:5]
	global_store_dwordx2 v[50:51], v[52:53], off
	ds_read2_b64 v[50:53], v12 offset0:2 offset1:3
	v_lshl_add_u64 v[98:99], v[104:105], 3, s[4:5]
	v_mov_b32_e32 v111, v3
	v_mov_b32_e32 v115, v3
	;; [unrolled: 1-line block ×3, first 2 shown]
	s_waitcnt lgkmcnt(0)
	global_store_dwordx2 v[98:99], v[50:51], off
	v_lshl_add_u64 v[50:51], v[110:111], 3, s[4:5]
	global_store_dwordx2 v[50:51], v[52:53], off
	ds_read2_b64 v[50:53], v12 offset0:4 offset1:5
	v_lshl_add_u64 v[98:99], v[114:115], 3, s[4:5]
	v_mov_b32_e32 v119, v3
	v_mov_b32_e32 v127, v3
	;; [unrolled: 1-line block ×3, first 2 shown]
	s_waitcnt lgkmcnt(0)
	global_store_dwordx2 v[98:99], v[50:51], off
	v_lshl_add_u64 v[50:51], v[122:123], 3, s[4:5]
	global_store_dwordx2 v[50:51], v[52:53], off
	ds_read2_b64 v[50:53], v12 offset0:6 offset1:7
	v_lshl_add_u64 v[98:99], v[118:119], 3, s[4:5]
	v_lshl_add_u64 v[6:7], v[6:7], 3, s[4:5]
	v_mov_b32_e32 v23, v3
	v_mov_b32_e32 v17, v3
	s_waitcnt lgkmcnt(0)
	global_store_dwordx2 v[98:99], v[50:51], off
	v_lshl_add_u64 v[50:51], v[126:127], 3, s[4:5]
	global_store_dwordx2 v[50:51], v[52:53], off
	ds_read2_b64 v[50:53], v12 offset0:8 offset1:9
	v_mov_b32_e32 v31, v3
	v_mov_b32_e32 v35, v3
	v_mov_b32_e32 v49, v3
	v_mov_b32_e32 v41, v3
	s_waitcnt lgkmcnt(0)
	global_store_dwordx2 v[6:7], v[50:51], off
	v_lshl_add_u64 v[6:7], v[22:23], 3, s[4:5]
	global_store_dwordx2 v[6:7], v[52:53], off
	ds_read2_b64 v[50:53], v12 offset0:10 offset1:11
	v_lshl_add_u64 v[6:7], v[16:17], 3, s[4:5]
	v_mov_b32_e32 v55, v3
	v_mov_b32_e32 v59, v3
	;; [unrolled: 1-line block ×3, first 2 shown]
	s_waitcnt lgkmcnt(0)
	global_store_dwordx2 v[6:7], v[50:51], off
	v_lshl_add_u64 v[6:7], v[30:31], 3, s[4:5]
	global_store_dwordx2 v[6:7], v[52:53], off
	ds_read2_b64 v[50:53], v12 offset0:12 offset1:13
	v_lshl_add_u64 v[6:7], v[34:35], 3, s[4:5]
	v_mov_b32_e32 v69, v3
	v_mov_b32_e32 v83, v3
	;; [unrolled: 1-line block ×3, first 2 shown]
	s_waitcnt lgkmcnt(0)
	global_store_dwordx2 v[6:7], v[50:51], off
	v_lshl_add_u64 v[6:7], v[48:49], 3, s[4:5]
	ds_read2_b64 v[48:51], v12 offset0:14 offset1:15
	global_store_dwordx2 v[6:7], v[52:53], off
	v_lshl_add_u64 v[6:7], v[40:41], 3, s[4:5]
	v_mov_b32_e32 v11, v3
	v_mov_b32_e32 v9, v3
	s_waitcnt lgkmcnt(0)
	global_store_dwordx2 v[6:7], v[48:49], off
	v_lshl_add_u64 v[6:7], v[54:55], 3, s[4:5]
	global_store_dwordx2 v[6:7], v[50:51], off
	ds_read2_b64 v[48:51], v12 offset0:16 offset1:17
	v_lshl_add_u64 v[6:7], v[58:59], 3, s[4:5]
	v_mov_b32_e32 v97, v3
	v_mov_b32_e32 v19, v3
	v_mov_b32_e32 v21, v3
	s_waitcnt lgkmcnt(0)
	global_store_dwordx2 v[6:7], v[48:49], off
	v_lshl_add_u64 v[6:7], v[72:73], 3, s[4:5]
	global_store_dwordx2 v[6:7], v[50:51], off
	ds_read2_b64 v[48:51], v12 offset0:18 offset1:19
	v_lshl_add_u64 v[6:7], v[68:69], 3, s[4:5]
	v_mov_b32_e32 v103, v3
	v_mov_b32_e32 v113, v3
	v_mov_b32_e32 v29, v3
	s_waitcnt lgkmcnt(0)
	global_store_dwordx2 v[6:7], v[48:49], off
	v_lshl_add_u64 v[6:7], v[82:83], 3, s[4:5]
	global_store_dwordx2 v[6:7], v[50:51], off
	ds_read2_b64 v[48:51], v12 offset0:20 offset1:21
	v_lshl_add_u64 v[6:7], v[86:87], 3, s[4:5]
	v_mov_b32_e32 v37, v3
	v_mov_b32_e32 v121, v3
	s_waitcnt lgkmcnt(0)
	global_store_dwordx2 v[6:7], v[48:49], off
	v_lshl_add_u64 v[6:7], v[10:11], 3, s[4:5]
	global_store_dwordx2 v[6:7], v[50:51], off
	ds_read2_b64 v[48:51], v12 offset0:22 offset1:23
	v_lshl_add_u64 v[6:7], v[8:9], 3, s[4:5]
	v_lshl_add_u64 v[10:11], v[18:19], 3, s[4:5]
	s_waitcnt lgkmcnt(0)
	global_store_dwordx2 v[6:7], v[48:49], off
	v_lshl_add_u64 v[6:7], v[96:97], 3, s[4:5]
	global_store_dwordx2 v[6:7], v[50:51], off
	ds_read2_b64 v[6:9], v12 offset0:24 offset1:25
	s_waitcnt lgkmcnt(0)
	global_store_dwordx2 v[10:11], v[6:7], off
	v_lshl_add_u64 v[6:7], v[20:21], 3, s[4:5]
	global_store_dwordx2 v[6:7], v[8:9], off
	ds_read2_b64 v[6:9], v12 offset0:26 offset1:27
	v_lshl_add_u64 v[10:11], v[102:103], 3, s[4:5]
	s_waitcnt lgkmcnt(0)
	global_store_dwordx2 v[10:11], v[6:7], off
	v_lshl_add_u64 v[6:7], v[112:113], 3, s[4:5]
	global_store_dwordx2 v[6:7], v[8:9], off
	ds_read2_b64 v[6:9], v12 offset0:28 offset1:29
	v_lshl_add_u64 v[10:11], v[28:29], 3, s[4:5]
	;; [unrolled: 6-line block ×3, first 2 shown]
	s_waitcnt lgkmcnt(0)
	global_store_dwordx2 v[10:11], v[6:7], off
	v_lshl_add_u64 v[6:7], v[38:39], 3, s[4:5]
	global_store_dwordx2 v[6:7], v[8:9], off
	s_and_b64 exec, exec, vcc
	s_cbranch_execz .LBB1_1
; %bb.68:                               ;   in Loop: Header=BB1_2 Depth=1
	scratch_load_dwordx2 v[6:7], off, off   ; 8-byte Folded Reload
	scratch_load_dwordx2 v[8:9], off, off offset:8 ; 8-byte Folded Reload
	v_lshl_add_u64 v[4:5], v[4:5], 3, s[4:5]
	s_waitcnt vmcnt(0)
	ds_write2_b64 v1, v[6:7], v[8:9] offset1:32
	scratch_load_dwordx2 v[6:7], off, off offset:16 ; 8-byte Folded Reload
	scratch_load_dwordx2 v[8:9], off, off offset:24 ; 8-byte Folded Reload
	s_waitcnt vmcnt(0)
	ds_write2_b64 v1, v[6:7], v[8:9] offset0:64 offset1:96
	scratch_load_dwordx2 v[6:7], off, off offset:32 ; 8-byte Folded Reload
	scratch_load_dwordx2 v[8:9], off, off offset:40 ; 8-byte Folded Reload
	s_waitcnt vmcnt(0)
	ds_write2_b64 v1, v[6:7], v[8:9] offset0:128 offset1:160
	;; [unrolled: 4-line block ×3, first 2 shown]
	scratch_load_dwordx2 v[8:9], off, off offset:64 ; 8-byte Folded Reload
	scratch_load_dwordx2 v[10:11], off, off offset:72 ; 8-byte Folded Reload
	v_add_u32_e32 v6, 0x800, v1
	s_waitcnt vmcnt(0)
	ds_write2_b64 v6, v[8:9], v[10:11] offset1:32
	scratch_load_dwordx2 v[8:9], off, off offset:80 ; 8-byte Folded Reload
	scratch_load_dwordx2 v[10:11], off, off offset:88 ; 8-byte Folded Reload
	s_waitcnt vmcnt(0)
	ds_write2_b64 v6, v[8:9], v[10:11] offset0:64 offset1:96
	scratch_load_dwordx2 v[8:9], off, off offset:96 ; 8-byte Folded Reload
	scratch_load_dwordx2 v[10:11], off, off offset:104 ; 8-byte Folded Reload
	s_waitcnt vmcnt(0)
	ds_write2_b64 v6, v[8:9], v[10:11] offset0:128 offset1:160
	scratch_load_dwordx2 v[8:9], off, off offset:112 ; 8-byte Folded Reload
	scratch_load_dwordx2 v[10:11], off, off offset:120 ; 8-byte Folded Reload
	s_waitcnt vmcnt(0)
	ds_write2_b64 v6, v[8:9], v[10:11] offset0:192 offset1:224
	scratch_load_dwordx2 v[8:9], off, off offset:128 ; 8-byte Folded Reload
	scratch_load_dwordx2 v[10:11], off, off offset:136 ; 8-byte Folded Reload
	v_add_u32_e32 v6, 0x1000, v1
	s_waitcnt vmcnt(0)
	ds_write2_b64 v6, v[8:9], v[10:11] offset1:32
	scratch_load_dwordx2 v[8:9], off, off offset:144 ; 8-byte Folded Reload
	scratch_load_dwordx2 v[10:11], off, off offset:152 ; 8-byte Folded Reload
	s_waitcnt vmcnt(0)
	ds_write2_b64 v6, v[8:9], v[10:11] offset0:64 offset1:96
	scratch_load_dwordx2 v[8:9], off, off offset:160 ; 8-byte Folded Reload
	scratch_load_dwordx2 v[10:11], off, off offset:168 ; 8-byte Folded Reload
	s_waitcnt vmcnt(0)
	ds_write2_b64 v6, v[8:9], v[10:11] offset0:128 offset1:160
	;; [unrolled: 4-line block ×3, first 2 shown]
	v_add_u32_e32 v6, 0x1800, v1
	ds_write2_b64 v6, v[26:27], v[44:45] offset1:32
	ds_write2_b64 v6, v[62:63], v[76:77] offset0:64 offset1:96
	ds_write2_b64 v6, v[90:91], v[14:15] offset0:128 offset1:160
	;; [unrolled: 1-line block ×3, first 2 shown]
	ds_read2_b64 v[6:9], v12 offset1:1
	ds_read2_b64 v[14:17], v12 offset0:2 offset1:3
	s_waitcnt lgkmcnt(1)
	global_store_dwordx2 v[4:5], v[6:7], off
	v_lshl_add_u64 v[4:5], v[2:3], 3, s[4:5]
	global_store_dwordx2 v[4:5], v[8:9], off
	scratch_load_dwordx2 v[4:5], off, off offset:192 ; 8-byte Folded Reload
	s_nop 0
	scratch_load_dwordx2 v[8:9], off, off offset:200 ; 8-byte Folded Reload
	s_waitcnt vmcnt(1)
	v_lshl_add_u64 v[4:5], v[4:5], 3, s[4:5]
	s_waitcnt lgkmcnt(0)
	global_store_dwordx2 v[4:5], v[14:15], off
	s_waitcnt vmcnt(1)
	v_lshl_add_u64 v[8:9], v[8:9], 3, s[4:5]
	global_store_dwordx2 v[8:9], v[16:17], off
	scratch_load_dwordx2 v[8:9], off, off offset:208 ; 8-byte Folded Reload
	ds_read2_b64 v[4:7], v12 offset0:4 offset1:5
	s_waitcnt vmcnt(0)
	v_lshl_add_u64 v[14:15], v[8:9], 3, s[4:5]
	ds_read2_b64 v[8:11], v12 offset0:6 offset1:7
	s_waitcnt lgkmcnt(1)
	global_store_dwordx2 v[14:15], v[4:5], off
	scratch_load_dwordx2 v[4:5], off, off offset:216 ; 8-byte Folded Reload
	s_waitcnt vmcnt(0)
	v_lshl_add_u64 v[4:5], v[4:5], 3, s[4:5]
	global_store_dwordx2 v[4:5], v[6:7], off
	scratch_load_dwordx2 v[4:5], off, off offset:224 ; 8-byte Folded Reload
	s_waitcnt vmcnt(0)
	v_lshl_add_u64 v[4:5], v[4:5], 3, s[4:5]
	s_waitcnt lgkmcnt(0)
	global_store_dwordx2 v[4:5], v[8:9], off
	scratch_load_dwordx2 v[8:9], off, off offset:232 ; 8-byte Folded Reload
	ds_read2_b64 v[4:7], v12 offset0:8 offset1:9
	s_waitcnt vmcnt(0)
	v_lshl_add_u64 v[8:9], v[8:9], 3, s[4:5]
	global_store_dwordx2 v[8:9], v[10:11], off
	scratch_load_dwordx2 v[8:9], off, off offset:240 ; 8-byte Folded Reload
	s_waitcnt vmcnt(0)
	v_lshl_add_u64 v[14:15], v[8:9], 3, s[4:5]
	ds_read2_b64 v[8:11], v12 offset0:10 offset1:11
	s_waitcnt lgkmcnt(1)
	global_store_dwordx2 v[14:15], v[4:5], off
	scratch_load_dwordx2 v[4:5], off, off offset:248 ; 8-byte Folded Reload
	s_waitcnt vmcnt(0)
	v_lshl_add_u64 v[4:5], v[4:5], 3, s[4:5]
	global_store_dwordx2 v[4:5], v[6:7], off
	scratch_load_dwordx2 v[4:5], off, off offset:256 ; 8-byte Folded Reload
	s_waitcnt vmcnt(0)
	v_lshl_add_u64 v[4:5], v[4:5], 3, s[4:5]
	s_waitcnt lgkmcnt(0)
	global_store_dwordx2 v[4:5], v[8:9], off
	scratch_load_dwordx2 v[8:9], off, off offset:264 ; 8-byte Folded Reload
	ds_read2_b64 v[4:7], v12 offset0:12 offset1:13
	s_waitcnt vmcnt(0)
	v_lshl_add_u64 v[8:9], v[8:9], 3, s[4:5]
	global_store_dwordx2 v[8:9], v[10:11], off
	scratch_load_dwordx2 v[8:9], off, off offset:272 ; 8-byte Folded Reload
	s_waitcnt vmcnt(0)
	v_lshl_add_u64 v[14:15], v[8:9], 3, s[4:5]
	ds_read2_b64 v[8:11], v12 offset0:14 offset1:15
	s_waitcnt lgkmcnt(1)
	global_store_dwordx2 v[14:15], v[4:5], off
	scratch_load_dwordx2 v[4:5], off, off offset:280 ; 8-byte Folded Reload
	v_lshl_add_u64 v[14:15], v[56:57], 3, s[4:5]
	s_waitcnt vmcnt(0)
	v_lshl_add_u64 v[4:5], v[4:5], 3, s[4:5]
	global_store_dwordx2 v[4:5], v[6:7], off
	v_lshl_add_u64 v[4:5], v[42:43], 3, s[4:5]
	s_waitcnt lgkmcnt(0)
	global_store_dwordx2 v[4:5], v[8:9], off
	ds_read2_b64 v[4:7], v12 offset0:16 offset1:17
	v_lshl_add_u64 v[8:9], v[46:47], 3, s[4:5]
	global_store_dwordx2 v[8:9], v[10:11], off
	ds_read2_b64 v[8:11], v12 offset0:18 offset1:19
	s_waitcnt lgkmcnt(1)
	global_store_dwordx2 v[14:15], v[4:5], off
	v_lshl_add_u64 v[4:5], v[60:61], 3, s[4:5]
	global_store_dwordx2 v[4:5], v[6:7], off
	v_lshl_add_u64 v[4:5], v[64:65], 3, s[4:5]
	s_waitcnt lgkmcnt(0)
	global_store_dwordx2 v[4:5], v[8:9], off
	ds_read2_b64 v[4:7], v12 offset0:20 offset1:21
	v_lshl_add_u64 v[8:9], v[66:67], 3, s[4:5]
	global_store_dwordx2 v[8:9], v[10:11], off
	ds_read2_b64 v[8:11], v12 offset0:22 offset1:23
	v_lshl_add_u64 v[14:15], v[70:71], 3, s[4:5]
	s_waitcnt lgkmcnt(1)
	global_store_dwordx2 v[14:15], v[4:5], off
	v_lshl_add_u64 v[4:5], v[74:75], 3, s[4:5]
	global_store_dwordx2 v[4:5], v[6:7], off
	v_lshl_add_u64 v[4:5], v[78:79], 3, s[4:5]
	s_waitcnt lgkmcnt(0)
	global_store_dwordx2 v[4:5], v[8:9], off
	ds_read2_b64 v[4:7], v12 offset0:24 offset1:25
	v_lshl_add_u64 v[8:9], v[80:81], 3, s[4:5]
	global_store_dwordx2 v[8:9], v[10:11], off
	ds_read2_b64 v[8:11], v12 offset0:26 offset1:27
	v_lshl_add_u64 v[14:15], v[84:85], 3, s[4:5]
	s_waitcnt lgkmcnt(1)
	global_store_dwordx2 v[14:15], v[4:5], off
	v_lshl_add_u64 v[4:5], v[88:89], 3, s[4:5]
	global_store_dwordx2 v[4:5], v[6:7], off
	v_lshl_add_u64 v[4:5], v[92:93], 3, s[4:5]
	s_waitcnt lgkmcnt(0)
	global_store_dwordx2 v[4:5], v[8:9], off
	ds_read2_b64 v[4:7], v12 offset0:28 offset1:29
	v_lshl_add_u64 v[8:9], v[94:95], 3, s[4:5]
	global_store_dwordx2 v[8:9], v[10:11], off
	ds_read2_b64 v[8:11], v12 offset0:30 offset1:31
	v_lshl_add_u64 v[14:15], v[100:101], 3, s[4:5]
	s_waitcnt lgkmcnt(1)
	global_store_dwordx2 v[14:15], v[4:5], off
	v_lshl_add_u64 v[4:5], v[108:109], 3, s[4:5]
	global_store_dwordx2 v[4:5], v[6:7], off
	v_lshl_add_u64 v[4:5], v[116:117], 3, s[4:5]
	s_waitcnt lgkmcnt(0)
	global_store_dwordx2 v[4:5], v[8:9], off
	v_lshl_add_u64 v[4:5], v[124:125], 3, s[4:5]
	global_store_dwordx2 v[4:5], v[10:11], off
	s_branch .LBB1_1
.LBB1_69:
	s_endpgm
	.section	.rodata,"a",@progbits
	.p2align	6, 0x0
	.amdhsa_kernel _Z21bit_rev_permutation_zPlPKlj
		.amdhsa_group_segment_fixed_size 0
		.amdhsa_private_segment_fixed_size 292
		.amdhsa_kernarg_size 280
		.amdhsa_user_sgpr_count 2
		.amdhsa_user_sgpr_dispatch_ptr 0
		.amdhsa_user_sgpr_queue_ptr 0
		.amdhsa_user_sgpr_kernarg_segment_ptr 1
		.amdhsa_user_sgpr_dispatch_id 0
		.amdhsa_user_sgpr_kernarg_preload_length 0
		.amdhsa_user_sgpr_kernarg_preload_offset 0
		.amdhsa_user_sgpr_private_segment_size 0
		.amdhsa_uses_dynamic_stack 0
		.amdhsa_enable_private_segment 1
		.amdhsa_system_sgpr_workgroup_id_x 1
		.amdhsa_system_sgpr_workgroup_id_y 0
		.amdhsa_system_sgpr_workgroup_id_z 0
		.amdhsa_system_sgpr_workgroup_info 0
		.amdhsa_system_vgpr_workitem_id 0
		.amdhsa_next_free_vgpr 128
		.amdhsa_next_free_sgpr 48
		.amdhsa_accum_offset 128
		.amdhsa_reserve_vcc 1
		.amdhsa_float_round_mode_32 0
		.amdhsa_float_round_mode_16_64 0
		.amdhsa_float_denorm_mode_32 3
		.amdhsa_float_denorm_mode_16_64 3
		.amdhsa_dx10_clamp 1
		.amdhsa_ieee_mode 1
		.amdhsa_fp16_overflow 0
		.amdhsa_tg_split 0
		.amdhsa_exception_fp_ieee_invalid_op 0
		.amdhsa_exception_fp_denorm_src 0
		.amdhsa_exception_fp_ieee_div_zero 0
		.amdhsa_exception_fp_ieee_overflow 0
		.amdhsa_exception_fp_ieee_underflow 0
		.amdhsa_exception_fp_ieee_inexact 0
		.amdhsa_exception_int_div_zero 0
	.end_amdhsa_kernel
	.text
.Lfunc_end1:
	.size	_Z21bit_rev_permutation_zPlPKlj, .Lfunc_end1-_Z21bit_rev_permutation_zPlPKlj
                                        ; -- End function
	.set _Z21bit_rev_permutation_zPlPKlj.num_vgpr, 128
	.set _Z21bit_rev_permutation_zPlPKlj.num_agpr, 0
	.set _Z21bit_rev_permutation_zPlPKlj.numbered_sgpr, 48
	.set _Z21bit_rev_permutation_zPlPKlj.num_named_barrier, 0
	.set _Z21bit_rev_permutation_zPlPKlj.private_seg_size, 292
	.set _Z21bit_rev_permutation_zPlPKlj.uses_vcc, 1
	.set _Z21bit_rev_permutation_zPlPKlj.uses_flat_scratch, 0
	.set _Z21bit_rev_permutation_zPlPKlj.has_dyn_sized_stack, 0
	.set _Z21bit_rev_permutation_zPlPKlj.has_recursion, 0
	.set _Z21bit_rev_permutation_zPlPKlj.has_indirect_call, 0
	.section	.AMDGPU.csdata,"",@progbits
; Kernel info:
; codeLenInByte = 5388
; TotalNumSgprs: 54
; NumVgprs: 128
; NumAgprs: 0
; TotalNumVgprs: 128
; ScratchSize: 292
; MemoryBound: 0
; FloatMode: 240
; IeeeMode: 1
; LDSByteSize: 0 bytes/workgroup (compile time only)
; SGPRBlocks: 6
; VGPRBlocks: 15
; NumSGPRsForWavesPerEU: 54
; NumVGPRsForWavesPerEU: 128
; AccumOffset: 128
; Occupancy: 4
; WaveLimiterHint : 0
; COMPUTE_PGM_RSRC2:SCRATCH_EN: 1
; COMPUTE_PGM_RSRC2:USER_SGPR: 2
; COMPUTE_PGM_RSRC2:TRAP_HANDLER: 0
; COMPUTE_PGM_RSRC2:TGID_X_EN: 1
; COMPUTE_PGM_RSRC2:TGID_Y_EN: 0
; COMPUTE_PGM_RSRC2:TGID_Z_EN: 0
; COMPUTE_PGM_RSRC2:TIDIG_COMP_CNT: 0
; COMPUTE_PGM_RSRC3_GFX90A:ACCUM_OFFSET: 31
; COMPUTE_PGM_RSRC3_GFX90A:TG_SPLIT: 0
	.text
	.p2alignl 6, 3212836864
	.fill 256, 4, 3212836864
	.section	.AMDGPU.gpr_maximums,"",@progbits
	.set amdgpu.max_num_vgpr, 0
	.set amdgpu.max_num_agpr, 0
	.set amdgpu.max_num_sgpr, 0
	.text
	.type	__hip_cuid_15fa2afe2207902d,@object ; @__hip_cuid_15fa2afe2207902d
	.section	.bss,"aw",@nobits
	.globl	__hip_cuid_15fa2afe2207902d
__hip_cuid_15fa2afe2207902d:
	.byte	0                               ; 0x0
	.size	__hip_cuid_15fa2afe2207902d, 1

	.ident	"AMD clang version 22.0.0git (https://github.com/RadeonOpenCompute/llvm-project roc-7.2.4 26084 f58b06dce1f9c15707c5f808fd002e18c2accf7e)"
	.section	".note.GNU-stack","",@progbits
	.addrsig
	.addrsig_sym __hip_cuid_15fa2afe2207902d
	.amdgpu_metadata
---
amdhsa.kernels:
  - .agpr_count:     0
    .args:
      - .address_space:  global
        .offset:         0
        .size:           8
        .value_kind:     global_buffer
      - .address_space:  global
        .offset:         8
        .size:           8
        .value_kind:     global_buffer
      - .offset:         16
        .size:           4
        .value_kind:     by_value
      - .offset:         24
        .size:           4
        .value_kind:     hidden_block_count_x
      - .offset:         28
        .size:           4
        .value_kind:     hidden_block_count_y
      - .offset:         32
        .size:           4
        .value_kind:     hidden_block_count_z
      - .offset:         36
        .size:           2
        .value_kind:     hidden_group_size_x
      - .offset:         38
        .size:           2
        .value_kind:     hidden_group_size_y
      - .offset:         40
        .size:           2
        .value_kind:     hidden_group_size_z
      - .offset:         42
        .size:           2
        .value_kind:     hidden_remainder_x
      - .offset:         44
        .size:           2
        .value_kind:     hidden_remainder_y
      - .offset:         46
        .size:           2
        .value_kind:     hidden_remainder_z
      - .offset:         64
        .size:           8
        .value_kind:     hidden_global_offset_x
      - .offset:         72
        .size:           8
        .value_kind:     hidden_global_offset_y
      - .offset:         80
        .size:           8
        .value_kind:     hidden_global_offset_z
      - .offset:         88
        .size:           2
        .value_kind:     hidden_grid_dims
    .group_segment_fixed_size: 0
    .kernarg_segment_align: 8
    .kernarg_segment_size: 280
    .language:       OpenCL C
    .language_version:
      - 2
      - 0
    .max_flat_workgroup_size: 1024
    .name:           _Z19bit_rev_permutationPlPKlj
    .private_segment_fixed_size: 0
    .sgpr_count:     22
    .sgpr_spill_count: 0
    .symbol:         _Z19bit_rev_permutationPlPKlj.kd
    .uniform_work_group_size: 1
    .uses_dynamic_stack: false
    .vgpr_count:     10
    .vgpr_spill_count: 0
    .wavefront_size: 64
  - .agpr_count:     0
    .args:
      - .address_space:  global
        .offset:         0
        .size:           8
        .value_kind:     global_buffer
      - .address_space:  global
        .offset:         8
        .size:           8
        .value_kind:     global_buffer
      - .offset:         16
        .size:           4
        .value_kind:     by_value
      - .offset:         24
        .size:           4
        .value_kind:     hidden_block_count_x
      - .offset:         28
        .size:           4
        .value_kind:     hidden_block_count_y
      - .offset:         32
        .size:           4
        .value_kind:     hidden_block_count_z
      - .offset:         36
        .size:           2
        .value_kind:     hidden_group_size_x
      - .offset:         38
        .size:           2
        .value_kind:     hidden_group_size_y
      - .offset:         40
        .size:           2
        .value_kind:     hidden_group_size_z
      - .offset:         42
        .size:           2
        .value_kind:     hidden_remainder_x
      - .offset:         44
        .size:           2
        .value_kind:     hidden_remainder_y
      - .offset:         46
        .size:           2
        .value_kind:     hidden_remainder_z
      - .offset:         64
        .size:           8
        .value_kind:     hidden_global_offset_x
      - .offset:         72
        .size:           8
        .value_kind:     hidden_global_offset_y
      - .offset:         80
        .size:           8
        .value_kind:     hidden_global_offset_z
      - .offset:         88
        .size:           2
        .value_kind:     hidden_grid_dims
      - .offset:         144
        .size:           4
        .value_kind:     hidden_dynamic_lds_size
    .group_segment_fixed_size: 0
    .kernarg_segment_align: 8
    .kernarg_segment_size: 280
    .language:       OpenCL C
    .language_version:
      - 2
      - 0
    .max_flat_workgroup_size: 1024
    .name:           _Z21bit_rev_permutation_zPlPKlj
    .private_segment_fixed_size: 292
    .sgpr_count:     54
    .sgpr_spill_count: 0
    .symbol:         _Z21bit_rev_permutation_zPlPKlj.kd
    .uniform_work_group_size: 1
    .uses_dynamic_stack: false
    .vgpr_count:     128
    .vgpr_spill_count: 120
    .wavefront_size: 64
amdhsa.target:   amdgcn-amd-amdhsa--gfx950
amdhsa.version:
  - 1
  - 2
...

	.end_amdgpu_metadata
